;; amdgpu-corpus repo=ROCm/rocFFT kind=compiled arch=gfx906 opt=O3
	.text
	.amdgcn_target "amdgcn-amd-amdhsa--gfx906"
	.amdhsa_code_object_version 6
	.protected	fft_rtc_back_len128_factors_8_2_8_wgs_128_tpt_16_dim1_dp_ip_CI_unitstride_sbrr_R2C_dirReg ; -- Begin function fft_rtc_back_len128_factors_8_2_8_wgs_128_tpt_16_dim1_dp_ip_CI_unitstride_sbrr_R2C_dirReg
	.globl	fft_rtc_back_len128_factors_8_2_8_wgs_128_tpt_16_dim1_dp_ip_CI_unitstride_sbrr_R2C_dirReg
	.p2align	8
	.type	fft_rtc_back_len128_factors_8_2_8_wgs_128_tpt_16_dim1_dp_ip_CI_unitstride_sbrr_R2C_dirReg,@function
fft_rtc_back_len128_factors_8_2_8_wgs_128_tpt_16_dim1_dp_ip_CI_unitstride_sbrr_R2C_dirReg: ; @fft_rtc_back_len128_factors_8_2_8_wgs_128_tpt_16_dim1_dp_ip_CI_unitstride_sbrr_R2C_dirReg
; %bb.0:
	s_load_dwordx4 s[12:15], s[4:5], 0x10
	s_load_dwordx2 s[8:9], s[4:5], 0x0
	v_lshrrev_b32_e32 v4, 4, v0
	v_lshl_or_b32 v5, s6, 3, v4
	s_load_dwordx2 s[2:3], s[4:5], 0x48
	s_waitcnt lgkmcnt(0)
	s_load_dwordx2 s[10:11], s[12:13], 0x8
	v_mov_b32_e32 v6, 0
	v_cmp_gt_u64_e32 vcc, s[14:15], v[5:6]
	v_and_b32_e32 v15, 15, v0
	v_or_b32_e32 v7, 16, v15
	s_waitcnt lgkmcnt(0)
	v_mad_u64_u32 v[1:2], s[0:1], s10, v5, 0
	v_cmp_le_u64_e64 s[0:1], s[14:15], v[5:6]
	v_or_b32_e32 v9, 32, v15
	v_mad_u64_u32 v[2:3], s[4:5], s11, v5, v[2:3]
	v_or_b32_e32 v6, 48, v15
	v_or_b32_e32 v10, 64, v15
                                        ; implicit-def: $vgpr12
                                        ; implicit-def: $vgpr11
                                        ; implicit-def: $vgpr3
	s_and_saveexec_b64 s[4:5], s[0:1]
	s_xor_b64 s[0:1], exec, s[4:5]
; %bb.1:
	v_or_b32_e32 v7, 16, v15
	v_or_b32_e32 v9, 32, v15
	;; [unrolled: 1-line block ×7, first 2 shown]
; %bb.2:
	s_or_saveexec_b64 s[4:5], s[0:1]
	v_mul_u32_u24_e32 v8, 0x81, v4
	v_lshlrev_b64 v[4:5], 4, v[1:2]
	v_lshlrev_b32_e32 v16, 4, v15
	v_lshlrev_b32_e32 v1, 4, v8
	s_xor_b64 exec, exec, s[4:5]
	s_cbranch_execz .LBB0_4
; %bb.3:
	v_mov_b32_e32 v2, s3
	v_add_co_u32_e64 v3, s[0:1], s2, v4
	v_addc_co_u32_e64 v8, s[0:1], v2, v5, s[0:1]
	v_add_co_u32_e64 v2, s[0:1], v3, v16
	v_addc_co_u32_e64 v3, s[0:1], 0, v8, s[0:1]
	global_load_dwordx4 v[17:20], v[2:3], off
	global_load_dwordx4 v[21:24], v[2:3], off offset:256
	global_load_dwordx4 v[25:28], v[2:3], off offset:512
	;; [unrolled: 1-line block ×7, first 2 shown]
	v_add3_u32 v2, 0, v1, v16
	v_or_b32_e32 v12, 0x50, v15
	v_or_b32_e32 v11, 0x60, v15
	;; [unrolled: 1-line block ×3, first 2 shown]
	s_waitcnt vmcnt(7)
	ds_write_b128 v2, v[17:20]
	s_waitcnt vmcnt(6)
	ds_write_b128 v2, v[21:24] offset:256
	s_waitcnt vmcnt(5)
	ds_write_b128 v2, v[25:28] offset:512
	;; [unrolled: 2-line block ×7, first 2 shown]
.LBB0_4:
	s_or_b64 exec, exec, s[4:5]
	v_add_u32_e32 v8, 0, v1
	v_add3_u32 v1, 0, v16, v1
	s_waitcnt lgkmcnt(0)
	s_barrier
	v_add_u32_e32 v17, v8, v16
	ds_read_b128 v[18:21], v1 offset:1024
	ds_read_b128 v[22:25], v17
	ds_read_b128 v[26:29], v1 offset:1536
	ds_read_b128 v[30:33], v1 offset:256
	;; [unrolled: 1-line block ×4, first 2 shown]
	s_waitcnt lgkmcnt(4)
	v_add_f64 v[13:14], v[22:23], -v[18:19]
	v_add_f64 v[46:47], v[24:25], -v[20:21]
	ds_read_b128 v[18:21], v1 offset:768
	ds_read_b128 v[42:45], v1 offset:1792
	s_waitcnt lgkmcnt(3)
	v_add_f64 v[34:35], v[30:31], -v[34:35]
	s_waitcnt lgkmcnt(2)
	v_add_f64 v[26:27], v[38:39], -v[26:27]
	v_add_f64 v[28:29], v[40:41], -v[28:29]
	;; [unrolled: 1-line block ×3, first 2 shown]
	s_waitcnt lgkmcnt(0)
	v_add_f64 v[44:45], v[20:21], -v[44:45]
	v_add_f64 v[42:43], v[18:19], -v[42:43]
	v_fma_f64 v[22:23], v[22:23], 2.0, -v[13:14]
	v_fma_f64 v[24:25], v[24:25], 2.0, -v[46:47]
	v_fma_f64 v[30:31], v[30:31], 2.0, -v[34:35]
	v_fma_f64 v[38:39], v[38:39], 2.0, -v[26:27]
	v_fma_f64 v[40:41], v[40:41], 2.0, -v[28:29]
	v_add_f64 v[50:51], v[46:47], -v[26:27]
	v_fma_f64 v[32:33], v[32:33], 2.0, -v[36:37]
	v_fma_f64 v[18:19], v[18:19], 2.0, -v[42:43]
	;; [unrolled: 1-line block ×3, first 2 shown]
	v_add_f64 v[48:49], v[13:14], v[28:29]
	v_add_f64 v[28:29], v[34:35], v[44:45]
	v_add_f64 v[26:27], v[36:37], -v[42:43]
	v_add_f64 v[44:45], v[22:23], -v[38:39]
	v_fma_f64 v[42:43], v[46:47], 2.0, -v[50:51]
	v_add_f64 v[46:47], v[24:25], -v[40:41]
	v_add_f64 v[38:39], v[30:31], -v[18:19]
	;; [unrolled: 1-line block ×3, first 2 shown]
	v_fma_f64 v[13:14], v[13:14], 2.0, -v[48:49]
	v_fma_f64 v[34:35], v[34:35], 2.0, -v[28:29]
	;; [unrolled: 1-line block ×3, first 2 shown]
	s_mov_b32 s0, 0x667f3bcd
	s_mov_b32 s1, 0xbfe6a09e
	v_fma_f64 v[52:53], v[22:23], 2.0, -v[44:45]
	v_fma_f64 v[54:55], v[24:25], 2.0, -v[46:47]
	;; [unrolled: 1-line block ×4, first 2 shown]
	s_mov_b32 s5, 0x3fe6a09e
	s_mov_b32 s4, s0
	v_fma_f64 v[22:23], v[34:35], s[0:1], v[13:14]
	v_fma_f64 v[24:25], v[36:37], s[0:1], v[42:43]
	;; [unrolled: 1-line block ×4, first 2 shown]
	v_add_f64 v[18:19], v[52:53], -v[18:19]
	v_add_f64 v[20:21], v[54:55], -v[20:21]
	;; [unrolled: 1-line block ×3, first 2 shown]
	s_movk_i32 s6, 0x70
	v_fma_f64 v[22:23], v[36:37], s[4:5], v[22:23]
	v_fma_f64 v[24:25], v[34:35], s[0:1], v[24:25]
	;; [unrolled: 1-line block ×3, first 2 shown]
	v_add_f64 v[30:31], v[44:45], v[40:41]
	v_fma_f64 v[28:29], v[28:29], s[0:1], v[56:57]
	v_fma_f64 v[34:35], v[52:53], 2.0, -v[18:19]
	v_fma_f64 v[36:37], v[54:55], 2.0, -v[20:21]
	v_mad_u32_u24 v2, v15, s6, v1
	v_fma_f64 v[38:39], v[13:14], 2.0, -v[22:23]
	v_fma_f64 v[40:41], v[42:43], 2.0, -v[24:25]
	v_fma_f64 v[42:43], v[44:45], 2.0, -v[30:31]
	v_fma_f64 v[44:45], v[46:47], 2.0, -v[32:33]
	v_fma_f64 v[46:47], v[48:49], 2.0, -v[26:27]
	v_fma_f64 v[48:49], v[50:51], 2.0, -v[28:29]
	s_barrier
	ds_write_b128 v2, v[34:37]
	ds_write_b128 v2, v[38:41] offset:16
	ds_write_b128 v2, v[42:45] offset:32
	;; [unrolled: 1-line block ×7, first 2 shown]
	v_and_b32_e32 v2, 7, v0
	v_lshlrev_b32_e32 v13, 4, v2
	s_waitcnt lgkmcnt(0)
	s_barrier
	global_load_dwordx4 v[21:24], v13, s[8:9]
	ds_read_b128 v[25:28], v1 offset:1024
	v_lshlrev_b32_e32 v0, 1, v0
	v_lshlrev_b32_e32 v13, 1, v7
	s_movk_i32 s7, 0x50
	v_lshlrev_b32_e32 v14, 1, v9
	v_lshlrev_b32_e32 v29, 1, v6
	v_and_or_b32 v0, v0, 16, v2
	v_and_or_b32 v55, v13, 48, v2
	;; [unrolled: 1-line block ×4, first 2 shown]
	ds_read_b128 v[29:32], v17
	ds_read_b128 v[33:36], v1 offset:1280
	v_mul_u32_u24_e32 v37, 7, v15
	v_lshlrev_b32_e32 v63, 4, v37
	ds_read_b128 v[37:40], v1 offset:1536
	v_lshl_add_u32 v20, v7, 4, v8
	ds_read_b128 v[41:44], v1 offset:1792
	ds_read_b128 v[45:48], v20
	v_lshl_add_u32 v64, v55, 4, v8
	v_lshl_add_u32 v65, v56, 4, v8
	;; [unrolled: 1-line block ×7, first 2 shown]
	s_waitcnt vmcnt(0) lgkmcnt(5)
	v_mul_f64 v[13:14], v[27:28], v[23:24]
	v_mul_f64 v[49:50], v[25:26], v[23:24]
	s_waitcnt lgkmcnt(3)
	v_mul_f64 v[51:52], v[35:36], v[23:24]
	v_mul_f64 v[53:54], v[33:34], v[23:24]
	v_fma_f64 v[13:14], v[25:26], v[21:22], v[13:14]
	v_fma_f64 v[49:50], v[27:28], v[21:22], -v[49:50]
	s_waitcnt lgkmcnt(2)
	v_mul_f64 v[25:26], v[39:40], v[23:24]
	v_mul_f64 v[27:28], v[37:38], v[23:24]
	v_fma_f64 v[51:52], v[33:34], v[21:22], v[51:52]
	s_waitcnt lgkmcnt(1)
	v_mul_f64 v[33:34], v[43:44], v[23:24]
	v_mul_f64 v[23:24], v[41:42], v[23:24]
	v_fma_f64 v[53:54], v[35:36], v[21:22], -v[53:54]
	v_add_f64 v[35:36], v[31:32], -v[49:50]
	v_fma_f64 v[55:56], v[37:38], v[21:22], v[25:26]
	v_fma_f64 v[57:58], v[39:40], v[21:22], -v[27:28]
	s_waitcnt lgkmcnt(0)
	v_add_f64 v[37:38], v[45:46], -v[51:52]
	v_fma_f64 v[59:60], v[41:42], v[21:22], v[33:34]
	v_fma_f64 v[61:62], v[43:44], v[21:22], -v[23:24]
	ds_read_b128 v[21:24], v19
	ds_read_b128 v[25:28], v18
	v_add_f64 v[33:34], v[29:30], -v[13:14]
	v_add_f64 v[39:40], v[47:48], -v[53:54]
	v_fma_f64 v[31:32], v[31:32], 2.0, -v[35:36]
	s_waitcnt lgkmcnt(1)
	v_add_f64 v[41:42], v[21:22], -v[55:56]
	v_add_f64 v[43:44], v[23:24], -v[57:58]
	s_waitcnt lgkmcnt(0)
	v_add_f64 v[49:50], v[25:26], -v[59:60]
	v_add_f64 v[51:52], v[27:28], -v[61:62]
	v_fma_f64 v[45:46], v[45:46], 2.0, -v[37:38]
	v_fma_f64 v[29:30], v[29:30], 2.0, -v[33:34]
	;; [unrolled: 1-line block ×7, first 2 shown]
	s_barrier
	ds_write_b128 v0, v[33:36] offset:128
	ds_write_b128 v0, v[29:32]
	ds_write_b128 v64, v[45:48]
	ds_write_b128 v64, v[37:40] offset:128
	ds_write_b128 v65, v[21:24]
	ds_write_b128 v65, v[41:44] offset:128
	;; [unrolled: 2-line block ×3, first 2 shown]
	s_waitcnt lgkmcnt(0)
	s_barrier
	global_load_dwordx4 v[21:24], v63, s[8:9] offset:128
	global_load_dwordx4 v[25:28], v63, s[8:9] offset:144
	;; [unrolled: 1-line block ×6, first 2 shown]
	ds_read_b128 v[45:48], v20
	ds_read_b128 v[49:52], v1 offset:1792
	ds_read_b128 v[53:56], v19
	v_lshl_add_u32 v0, v10, 4, v8
	v_lshl_add_u32 v61, v11, 4, v8
	;; [unrolled: 1-line block ×3, first 2 shown]
	s_waitcnt vmcnt(5) lgkmcnt(2)
	v_mul_f64 v[13:14], v[47:48], v[23:24]
	v_mul_f64 v[23:24], v[45:46], v[23:24]
	v_fma_f64 v[13:14], v[45:46], v[21:22], v[13:14]
	v_fma_f64 v[45:46], v[47:48], v[21:22], -v[23:24]
	ds_read_b128 v[21:24], v18
	s_waitcnt vmcnt(4) lgkmcnt(1)
	v_mul_f64 v[47:48], v[55:56], v[27:28]
	v_mul_f64 v[27:28], v[53:54], v[27:28]
	v_fma_f64 v[47:48], v[53:54], v[25:26], v[47:48]
	v_fma_f64 v[53:54], v[55:56], v[25:26], -v[27:28]
	s_waitcnt vmcnt(3) lgkmcnt(0)
	v_mul_f64 v[55:56], v[23:24], v[31:32]
	v_mul_f64 v[31:32], v[21:22], v[31:32]
	ds_read_b128 v[25:28], v1 offset:1024
	v_fma_f64 v[55:56], v[21:22], v[29:30], v[55:56]
	v_fma_f64 v[57:58], v[23:24], v[29:30], -v[31:32]
	ds_read_b128 v[21:24], v17
	s_waitcnt vmcnt(2) lgkmcnt(1)
	v_mul_f64 v[29:30], v[27:28], v[35:36]
	v_mul_f64 v[31:32], v[25:26], v[35:36]
	v_fma_f64 v[35:36], v[25:26], v[33:34], v[29:30]
	v_fma_f64 v[33:34], v[27:28], v[33:34], -v[31:32]
	ds_read_b128 v[25:28], v1 offset:1280
	ds_read_b128 v[29:32], v1 offset:1536
	s_waitcnt vmcnt(1) lgkmcnt(1)
	v_mul_f64 v[59:60], v[27:28], v[39:40]
	v_add_f64 v[33:34], v[23:24], -v[33:34]
	v_fma_f64 v[59:60], v[25:26], v[37:38], v[59:60]
	v_mul_f64 v[25:26], v[25:26], v[39:40]
	v_fma_f64 v[23:24], v[23:24], 2.0, -v[33:34]
	v_fma_f64 v[37:38], v[27:28], v[37:38], -v[25:26]
	s_waitcnt vmcnt(0) lgkmcnt(0)
	v_mul_f64 v[25:26], v[31:32], v[43:44]
	v_mul_f64 v[27:28], v[29:30], v[43:44]
	v_add_f64 v[37:38], v[45:46], -v[37:38]
	v_fma_f64 v[29:30], v[29:30], v[41:42], v[25:26]
	v_fma_f64 v[31:32], v[31:32], v[41:42], -v[27:28]
	global_load_dwordx4 v[25:28], v63, s[8:9] offset:224
	s_waitcnt vmcnt(0)
	s_barrier
	v_fma_f64 v[45:46], v[45:46], 2.0, -v[37:38]
	v_add_f64 v[29:30], v[47:48], -v[29:30]
	v_add_f64 v[31:32], v[53:54], -v[31:32]
	v_fma_f64 v[41:42], v[47:48], 2.0, -v[29:30]
	v_fma_f64 v[43:44], v[53:54], 2.0, -v[31:32]
	v_add_f64 v[53:54], v[33:34], -v[29:30]
	v_mul_f64 v[39:40], v[51:52], v[27:28]
	v_mul_f64 v[27:28], v[49:50], v[27:28]
	v_fma_f64 v[39:40], v[49:50], v[25:26], v[39:40]
	v_fma_f64 v[25:26], v[51:52], v[25:26], -v[27:28]
	v_add_f64 v[27:28], v[21:22], -v[35:36]
	v_add_f64 v[35:36], v[13:14], -v[59:60]
	;; [unrolled: 1-line block ×4, first 2 shown]
	v_fma_f64 v[21:22], v[21:22], 2.0, -v[27:28]
	v_fma_f64 v[13:14], v[13:14], 2.0, -v[35:36]
	v_add_f64 v[51:52], v[27:28], v[31:32]
	v_fma_f64 v[47:48], v[55:56], 2.0, -v[39:40]
	v_fma_f64 v[49:50], v[57:58], 2.0, -v[25:26]
	v_add_f64 v[31:32], v[35:36], v[25:26]
	v_add_f64 v[29:30], v[37:38], -v[39:40]
	v_add_f64 v[39:40], v[21:22], -v[41:42]
	;; [unrolled: 1-line block ×5, first 2 shown]
	v_fma_f64 v[47:48], v[27:28], 2.0, -v[51:52]
	v_fma_f64 v[49:50], v[33:34], 2.0, -v[53:54]
	;; [unrolled: 1-line block ×8, first 2 shown]
	v_fma_f64 v[57:58], v[31:32], s[4:5], v[51:52]
	v_fma_f64 v[59:60], v[29:30], s[4:5], v[53:54]
	v_fma_f64 v[35:36], v[27:28], s[0:1], v[47:48]
	v_fma_f64 v[45:46], v[33:34], s[0:1], v[49:50]
	v_add_f64 v[10:11], v[39:40], v[43:44]
	v_add_f64 v[12:13], v[41:42], -v[25:26]
	v_add_f64 v[21:22], v[37:38], -v[21:22]
	;; [unrolled: 1-line block ×3, first 2 shown]
	v_fma_f64 v[29:30], v[29:30], s[4:5], v[57:58]
	v_fma_f64 v[31:32], v[31:32], s[0:1], v[59:60]
	;; [unrolled: 1-line block ×4, first 2 shown]
	v_fma_f64 v[33:34], v[39:40], 2.0, -v[10:11]
	v_fma_f64 v[35:36], v[41:42], 2.0, -v[12:13]
	;; [unrolled: 1-line block ×5, first 2 shown]
	v_cmp_ne_u32_e64 s[0:1], 0, v15
	v_fma_f64 v[41:42], v[47:48], 2.0, -v[25:26]
	v_fma_f64 v[43:44], v[49:50], 2.0, -v[27:28]
	;; [unrolled: 1-line block ×3, first 2 shown]
	ds_write_b128 v1, v[37:40]
	ds_write_b128 v20, v[41:44]
	;; [unrolled: 1-line block ×8, first 2 shown]
	s_waitcnt lgkmcnt(0)
	s_barrier
	ds_read_b128 v[0:3], v17
	v_sub_u32_e32 v21, v8, v16
                                        ; implicit-def: $vgpr13_vgpr14
                                        ; implicit-def: $vgpr11_vgpr12
	s_and_saveexec_b64 s[4:5], s[0:1]
	s_xor_b64 s[0:1], exec, s[4:5]
	s_cbranch_execz .LBB0_6
; %bb.5:
	global_load_dwordx4 v[22:25], v16, s[8:9] offset:1920
	ds_read_b128 v[10:13], v21 offset:2048
                                        ; implicit-def: $vgpr8
	s_waitcnt lgkmcnt(0)
	v_add_f64 v[26:27], v[0:1], -v[10:11]
	v_add_f64 v[28:29], v[2:3], v[12:13]
	v_add_f64 v[2:3], v[2:3], -v[12:13]
	v_add_f64 v[0:1], v[0:1], v[10:11]
	v_mul_f64 v[12:13], v[26:27], 0.5
	v_mul_f64 v[26:27], v[28:29], 0.5
	;; [unrolled: 1-line block ×3, first 2 shown]
	s_waitcnt vmcnt(0)
	v_mul_f64 v[10:11], v[12:13], v[24:25]
	v_fma_f64 v[28:29], v[26:27], v[24:25], v[2:3]
	v_fma_f64 v[2:3], v[26:27], v[24:25], -v[2:3]
	v_fma_f64 v[24:25], v[0:1], 0.5, v[10:11]
	v_fma_f64 v[0:1], v[0:1], 0.5, -v[10:11]
	v_fma_f64 v[28:29], -v[22:23], v[12:13], v[28:29]
	v_fma_f64 v[2:3], -v[22:23], v[12:13], v[2:3]
	ds_write_b64 v17, v[28:29] offset:8
	ds_write_b64 v21, v[2:3] offset:2056
	v_fma_f64 v[11:12], v[26:27], v[22:23], v[24:25]
	v_fma_f64 v[13:14], -v[26:27], v[22:23], v[0:1]
                                        ; implicit-def: $vgpr0_vgpr1
.LBB0_6:
	s_andn2_saveexec_b64 s[0:1], s[0:1]
	s_cbranch_execz .LBB0_8
; %bb.7:
	s_mov_b32 s4, 0
	s_mov_b32 s5, s4
	v_mov_b32_e32 v23, s5
	s_waitcnt lgkmcnt(0)
	v_add_f64 v[11:12], v[0:1], v[2:3]
	v_mov_b32_e32 v22, s4
	v_add_f64 v[13:14], v[0:1], -v[2:3]
	ds_write_b64 v17, v[22:23] offset:8
	ds_write_b64 v21, v[22:23] offset:2056
	ds_read_b64 v[0:1], v8 offset:1032
	s_waitcnt lgkmcnt(0)
	v_xor_b32_e32 v1, 0x80000000, v1
	ds_write_b64 v8, v[0:1] offset:1032
.LBB0_8:
	s_or_b64 exec, exec, s[0:1]
	v_mov_b32_e32 v8, 0
	s_waitcnt lgkmcnt(0)
	v_lshlrev_b64 v[0:1], 4, v[7:8]
	v_mov_b32_e32 v32, s9
	v_add_co_u32_e64 v0, s[0:1], s8, v0
	v_addc_co_u32_e64 v1, s[0:1], v32, v1, s[0:1]
	global_load_dwordx4 v[0:3], v[0:1], off offset:1920
	v_mov_b32_e32 v10, v8
	v_lshlrev_b64 v[9:10], 4, v[9:10]
	v_mov_b32_e32 v7, v8
	v_add_co_u32_e64 v9, s[0:1], s8, v9
	v_addc_co_u32_e64 v10, s[0:1], v32, v10, s[0:1]
	global_load_dwordx4 v[22:25], v[9:10], off offset:1920
	ds_write_b64 v17, v[11:12]
	ds_write_b64 v21, v[13:14] offset:2048
	ds_read_b128 v[9:12], v20
	ds_read_b128 v[26:29], v21 offset:1792
	v_lshlrev_b64 v[6:7], 4, v[6:7]
	v_add_co_u32_e64 v6, s[0:1], s8, v6
	s_waitcnt lgkmcnt(0)
	v_add_f64 v[13:14], v[9:10], -v[26:27]
	v_add_f64 v[30:31], v[11:12], v[28:29]
	v_add_f64 v[11:12], v[11:12], -v[28:29]
	v_add_f64 v[9:10], v[9:10], v[26:27]
	v_addc_co_u32_e64 v7, s[0:1], v32, v7, s[0:1]
	v_mul_f64 v[13:14], v[13:14], 0.5
	v_mul_f64 v[28:29], v[30:31], 0.5
	;; [unrolled: 1-line block ×3, first 2 shown]
	s_waitcnt vmcnt(1)
	v_mul_f64 v[26:27], v[13:14], v[2:3]
	v_fma_f64 v[30:31], v[28:29], v[2:3], v[11:12]
	v_fma_f64 v[2:3], v[28:29], v[2:3], -v[11:12]
	v_fma_f64 v[11:12], v[9:10], 0.5, v[26:27]
	v_fma_f64 v[26:27], v[9:10], 0.5, -v[26:27]
	global_load_dwordx4 v[6:9], v[6:7], off offset:1920
	v_fma_f64 v[30:31], -v[0:1], v[13:14], v[30:31]
	v_fma_f64 v[2:3], -v[0:1], v[13:14], v[2:3]
	v_fma_f64 v[10:11], v[28:29], v[0:1], v[11:12]
	v_fma_f64 v[0:1], -v[28:29], v[0:1], v[26:27]
	ds_write2_b64 v20, v[10:11], v[30:31] offset1:1
	ds_write_b128 v21, v[0:3] offset:1792
	ds_read_b128 v[0:3], v19
	ds_read_b128 v[10:13], v21 offset:1536
	s_waitcnt lgkmcnt(0)
	v_add_f64 v[26:27], v[0:1], -v[10:11]
	v_add_f64 v[28:29], v[2:3], v[12:13]
	v_add_f64 v[2:3], v[2:3], -v[12:13]
	v_add_f64 v[0:1], v[0:1], v[10:11]
	v_mul_f64 v[12:13], v[26:27], 0.5
	v_mul_f64 v[26:27], v[28:29], 0.5
	;; [unrolled: 1-line block ×3, first 2 shown]
	s_waitcnt vmcnt(1)
	v_mul_f64 v[10:11], v[12:13], v[24:25]
	v_fma_f64 v[28:29], v[26:27], v[24:25], v[2:3]
	v_fma_f64 v[2:3], v[26:27], v[24:25], -v[2:3]
	v_fma_f64 v[24:25], v[0:1], 0.5, v[10:11]
	v_fma_f64 v[0:1], v[0:1], 0.5, -v[10:11]
	v_fma_f64 v[10:11], -v[22:23], v[12:13], v[28:29]
	v_fma_f64 v[2:3], -v[22:23], v[12:13], v[2:3]
	v_fma_f64 v[12:13], v[26:27], v[22:23], v[24:25]
	v_fma_f64 v[0:1], -v[26:27], v[22:23], v[0:1]
	ds_write2_b64 v19, v[12:13], v[10:11] offset1:1
	ds_write_b128 v21, v[0:3] offset:1536
	ds_read_b128 v[0:3], v18
	ds_read_b128 v[10:13], v21 offset:1280
	s_waitcnt lgkmcnt(0)
	v_add_f64 v[19:20], v[0:1], -v[10:11]
	v_add_f64 v[22:23], v[2:3], v[12:13]
	v_add_f64 v[2:3], v[2:3], -v[12:13]
	v_add_f64 v[0:1], v[0:1], v[10:11]
	v_mul_f64 v[12:13], v[19:20], 0.5
	v_mul_f64 v[19:20], v[22:23], 0.5
	;; [unrolled: 1-line block ×3, first 2 shown]
	s_waitcnt vmcnt(0)
	v_mul_f64 v[10:11], v[12:13], v[8:9]
	v_fma_f64 v[22:23], v[19:20], v[8:9], v[2:3]
	v_fma_f64 v[2:3], v[19:20], v[8:9], -v[2:3]
	v_fma_f64 v[8:9], v[0:1], 0.5, v[10:11]
	v_fma_f64 v[0:1], v[0:1], 0.5, -v[10:11]
	v_fma_f64 v[10:11], -v[6:7], v[12:13], v[22:23]
	v_fma_f64 v[2:3], -v[6:7], v[12:13], v[2:3]
	v_fma_f64 v[8:9], v[19:20], v[6:7], v[8:9]
	v_fma_f64 v[0:1], -v[19:20], v[6:7], v[0:1]
	ds_write2_b64 v18, v[8:9], v[10:11] offset1:1
	ds_write_b128 v21, v[0:3] offset:1280
	s_waitcnt lgkmcnt(0)
	s_barrier
	s_and_saveexec_b64 s[0:1], vcc
	s_cbranch_execz .LBB0_11
; %bb.9:
	v_mov_b32_e32 v1, s3
	v_add_co_u32_e32 v0, vcc, s2, v4
	v_addc_co_u32_e32 v1, vcc, v1, v5, vcc
	ds_read_b128 v[2:5], v17
	ds_read_b128 v[6:9], v17 offset:256
	ds_read_b128 v[10:13], v17 offset:512
	v_add_co_u32_e32 v26, vcc, v0, v16
	v_addc_co_u32_e32 v27, vcc, 0, v1, vcc
	s_waitcnt lgkmcnt(2)
	global_store_dwordx4 v[26:27], v[2:5], off
	s_waitcnt lgkmcnt(1)
	global_store_dwordx4 v[26:27], v[6:9], off offset:256
	s_waitcnt lgkmcnt(0)
	global_store_dwordx4 v[26:27], v[10:13], off offset:512
	ds_read_b128 v[2:5], v17 offset:768
	ds_read_b128 v[6:9], v17 offset:1024
	;; [unrolled: 1-line block ×5, first 2 shown]
	v_cmp_eq_u32_e32 vcc, 15, v15
	s_waitcnt lgkmcnt(4)
	global_store_dwordx4 v[26:27], v[2:5], off offset:768
	s_waitcnt lgkmcnt(3)
	global_store_dwordx4 v[26:27], v[6:9], off offset:1024
	;; [unrolled: 2-line block ×5, first 2 shown]
	s_and_b64 exec, exec, vcc
	s_cbranch_execz .LBB0_11
; %bb.10:
	ds_read_b128 v[2:5], v17 offset:1808
	s_waitcnt lgkmcnt(0)
	global_store_dwordx4 v[0:1], v[2:5], off offset:2048
.LBB0_11:
	s_endpgm
	.section	.rodata,"a",@progbits
	.p2align	6, 0x0
	.amdhsa_kernel fft_rtc_back_len128_factors_8_2_8_wgs_128_tpt_16_dim1_dp_ip_CI_unitstride_sbrr_R2C_dirReg
		.amdhsa_group_segment_fixed_size 0
		.amdhsa_private_segment_fixed_size 0
		.amdhsa_kernarg_size 80
		.amdhsa_user_sgpr_count 6
		.amdhsa_user_sgpr_private_segment_buffer 1
		.amdhsa_user_sgpr_dispatch_ptr 0
		.amdhsa_user_sgpr_queue_ptr 0
		.amdhsa_user_sgpr_kernarg_segment_ptr 1
		.amdhsa_user_sgpr_dispatch_id 0
		.amdhsa_user_sgpr_flat_scratch_init 0
		.amdhsa_user_sgpr_private_segment_size 0
		.amdhsa_uses_dynamic_stack 0
		.amdhsa_system_sgpr_private_segment_wavefront_offset 0
		.amdhsa_system_sgpr_workgroup_id_x 1
		.amdhsa_system_sgpr_workgroup_id_y 0
		.amdhsa_system_sgpr_workgroup_id_z 0
		.amdhsa_system_sgpr_workgroup_info 0
		.amdhsa_system_vgpr_workitem_id 0
		.amdhsa_next_free_vgpr 66
		.amdhsa_next_free_sgpr 16
		.amdhsa_reserve_vcc 1
		.amdhsa_reserve_flat_scratch 0
		.amdhsa_float_round_mode_32 0
		.amdhsa_float_round_mode_16_64 0
		.amdhsa_float_denorm_mode_32 3
		.amdhsa_float_denorm_mode_16_64 3
		.amdhsa_dx10_clamp 1
		.amdhsa_ieee_mode 1
		.amdhsa_fp16_overflow 0
		.amdhsa_exception_fp_ieee_invalid_op 0
		.amdhsa_exception_fp_denorm_src 0
		.amdhsa_exception_fp_ieee_div_zero 0
		.amdhsa_exception_fp_ieee_overflow 0
		.amdhsa_exception_fp_ieee_underflow 0
		.amdhsa_exception_fp_ieee_inexact 0
		.amdhsa_exception_int_div_zero 0
	.end_amdhsa_kernel
	.text
.Lfunc_end0:
	.size	fft_rtc_back_len128_factors_8_2_8_wgs_128_tpt_16_dim1_dp_ip_CI_unitstride_sbrr_R2C_dirReg, .Lfunc_end0-fft_rtc_back_len128_factors_8_2_8_wgs_128_tpt_16_dim1_dp_ip_CI_unitstride_sbrr_R2C_dirReg
                                        ; -- End function
	.section	.AMDGPU.csdata,"",@progbits
; Kernel info:
; codeLenInByte = 3668
; NumSgprs: 20
; NumVgprs: 66
; ScratchSize: 0
; MemoryBound: 0
; FloatMode: 240
; IeeeMode: 1
; LDSByteSize: 0 bytes/workgroup (compile time only)
; SGPRBlocks: 2
; VGPRBlocks: 16
; NumSGPRsForWavesPerEU: 20
; NumVGPRsForWavesPerEU: 66
; Occupancy: 3
; WaveLimiterHint : 1
; COMPUTE_PGM_RSRC2:SCRATCH_EN: 0
; COMPUTE_PGM_RSRC2:USER_SGPR: 6
; COMPUTE_PGM_RSRC2:TRAP_HANDLER: 0
; COMPUTE_PGM_RSRC2:TGID_X_EN: 1
; COMPUTE_PGM_RSRC2:TGID_Y_EN: 0
; COMPUTE_PGM_RSRC2:TGID_Z_EN: 0
; COMPUTE_PGM_RSRC2:TIDIG_COMP_CNT: 0
	.type	__hip_cuid_3ba2400ec2d335a,@object ; @__hip_cuid_3ba2400ec2d335a
	.section	.bss,"aw",@nobits
	.globl	__hip_cuid_3ba2400ec2d335a
__hip_cuid_3ba2400ec2d335a:
	.byte	0                               ; 0x0
	.size	__hip_cuid_3ba2400ec2d335a, 1

	.ident	"AMD clang version 19.0.0git (https://github.com/RadeonOpenCompute/llvm-project roc-6.4.0 25133 c7fe45cf4b819c5991fe208aaa96edf142730f1d)"
	.section	".note.GNU-stack","",@progbits
	.addrsig
	.addrsig_sym __hip_cuid_3ba2400ec2d335a
	.amdgpu_metadata
---
amdhsa.kernels:
  - .args:
      - .actual_access:  read_only
        .address_space:  global
        .offset:         0
        .size:           8
        .value_kind:     global_buffer
      - .actual_access:  read_only
        .address_space:  global
        .offset:         8
        .size:           8
        .value_kind:     global_buffer
      - .actual_access:  read_only
        .address_space:  global
        .offset:         16
        .size:           8
        .value_kind:     global_buffer
      - .offset:         24
        .size:           8
        .value_kind:     by_value
      - .actual_access:  read_only
        .address_space:  global
        .offset:         32
        .size:           8
        .value_kind:     global_buffer
      - .actual_access:  read_only
        .address_space:  global
        .offset:         40
        .size:           8
        .value_kind:     global_buffer
      - .offset:         48
        .size:           4
        .value_kind:     by_value
      - .actual_access:  read_only
        .address_space:  global
        .offset:         56
        .size:           8
        .value_kind:     global_buffer
      - .actual_access:  read_only
        .address_space:  global
        .offset:         64
        .size:           8
        .value_kind:     global_buffer
      - .address_space:  global
        .offset:         72
        .size:           8
        .value_kind:     global_buffer
    .group_segment_fixed_size: 0
    .kernarg_segment_align: 8
    .kernarg_segment_size: 80
    .language:       OpenCL C
    .language_version:
      - 2
      - 0
    .max_flat_workgroup_size: 128
    .name:           fft_rtc_back_len128_factors_8_2_8_wgs_128_tpt_16_dim1_dp_ip_CI_unitstride_sbrr_R2C_dirReg
    .private_segment_fixed_size: 0
    .sgpr_count:     20
    .sgpr_spill_count: 0
    .symbol:         fft_rtc_back_len128_factors_8_2_8_wgs_128_tpt_16_dim1_dp_ip_CI_unitstride_sbrr_R2C_dirReg.kd
    .uniform_work_group_size: 1
    .uses_dynamic_stack: false
    .vgpr_count:     66
    .vgpr_spill_count: 0
    .wavefront_size: 64
amdhsa.target:   amdgcn-amd-amdhsa--gfx906
amdhsa.version:
  - 1
  - 2
...

	.end_amdgpu_metadata
